;; amdgpu-corpus repo=tuanlda78202/gpt-oss-amd kind=compiled arch=gfx1201 opt=O3
	.amdgcn_target "amdgcn-amd-amdhsa--gfx1201"
	.amdhsa_code_object_version 6
	.text
	.protected	_Z19embed_kernel_scalarPK14__hip_bfloat16PKiPfii ; -- Begin function _Z19embed_kernel_scalarPK14__hip_bfloat16PKiPfii
	.globl	_Z19embed_kernel_scalarPK14__hip_bfloat16PKiPfii
	.p2align	8
	.type	_Z19embed_kernel_scalarPK14__hip_bfloat16PKiPfii,@function
_Z19embed_kernel_scalarPK14__hip_bfloat16PKiPfii: ; @_Z19embed_kernel_scalarPK14__hip_bfloat16PKiPfii
; %bb.0:
	s_clause 0x1
	s_load_b32 s4, s[0:1], 0x2c
	s_load_b64 s[2:3], s[0:1], 0x18
	s_wait_kmcnt 0x0
	s_and_b32 s4, s4, 0xffff
	s_cmp_lt_i32 ttmp7, s2
	v_mad_co_u64_u32 v[1:2], null, ttmp9, s4, v[0:1]
	s_cselect_b32 s2, -1, 0
	v_cmp_gt_i32_e32 vcc_lo, s3, v1
	s_and_b32 s2, s2, vcc_lo
	s_wait_alu 0xfffe
	s_and_saveexec_b32 s4, s2
	s_cbranch_execz .LBB0_4
; %bb.1:
	s_clause 0x1
	s_load_b64 s[6:7], s[0:1], 0x0
	s_load_b64 s[4:5], s[0:1], 0x10
	s_mov_b32 s2, exec_lo
	v_cmpx_eq_u32_e32 0, v0
	s_cbranch_execz .LBB0_3
; %bb.2:
	s_load_b64 s[0:1], s[0:1], 0x8
	s_mov_b32 s8, ttmp7
	s_ashr_i32 s9, ttmp7, 31
	v_mov_b32_e32 v0, 0
	s_lshl_b64 s[8:9], s[8:9], 2
	s_wait_kmcnt 0x0
	s_add_nc_u64 s[0:1], s[0:1], s[8:9]
	s_load_b32 s0, s[0:1], 0x0
	s_wait_kmcnt 0x0
	v_mov_b32_e32 v2, s0
	ds_store_b32 v0, v2
.LBB0_3:
	s_wait_alu 0xfffe
	s_or_b32 exec_lo, exec_lo, s2
	v_mov_b32_e32 v0, 0
	s_wait_dscnt 0x0
	s_barrier_signal -1
	s_barrier_wait -1
	global_inv scope:SCOPE_SE
	ds_load_b32 v0, v0
	s_wait_dscnt 0x0
	v_mad_co_u64_u32 v[2:3], null, v0, s3, v[1:2]
	s_delay_alu instid0(VALU_DEP_1) | instskip(NEXT) | instid1(VALU_DEP_1)
	v_ashrrev_i32_e32 v3, 31, v2
	v_lshlrev_b64_e32 v[2:3], 1, v[2:3]
	s_wait_kmcnt 0x0
	s_delay_alu instid0(VALU_DEP_1) | instskip(NEXT) | instid1(VALU_DEP_1)
	v_add_co_u32 v2, vcc_lo, s6, v2
	v_add_co_ci_u32_e64 v3, null, s7, v3, vcc_lo
	global_load_u16 v2, v[2:3], off
	s_wait_loadcnt 0x0
	v_mad_co_u64_u32 v[0:1], null, s3, ttmp7, v[1:2]
	v_lshlrev_b32_e32 v2, 16, v2
	s_delay_alu instid0(VALU_DEP_2) | instskip(NEXT) | instid1(VALU_DEP_1)
	v_ashrrev_i32_e32 v1, 31, v0
	v_lshlrev_b64_e32 v[0:1], 2, v[0:1]
	s_delay_alu instid0(VALU_DEP_1) | instskip(SKIP_1) | instid1(VALU_DEP_2)
	v_add_co_u32 v0, vcc_lo, s4, v0
	s_wait_alu 0xfffd
	v_add_co_ci_u32_e64 v1, null, s5, v1, vcc_lo
	global_store_b32 v[0:1], v2, off
.LBB0_4:
	s_endpgm
	.section	.rodata,"a",@progbits
	.p2align	6, 0x0
	.amdhsa_kernel _Z19embed_kernel_scalarPK14__hip_bfloat16PKiPfii
		.amdhsa_group_segment_fixed_size 4
		.amdhsa_private_segment_fixed_size 0
		.amdhsa_kernarg_size 288
		.amdhsa_user_sgpr_count 2
		.amdhsa_user_sgpr_dispatch_ptr 0
		.amdhsa_user_sgpr_queue_ptr 0
		.amdhsa_user_sgpr_kernarg_segment_ptr 1
		.amdhsa_user_sgpr_dispatch_id 0
		.amdhsa_user_sgpr_private_segment_size 0
		.amdhsa_wavefront_size32 1
		.amdhsa_uses_dynamic_stack 0
		.amdhsa_enable_private_segment 0
		.amdhsa_system_sgpr_workgroup_id_x 1
		.amdhsa_system_sgpr_workgroup_id_y 1
		.amdhsa_system_sgpr_workgroup_id_z 0
		.amdhsa_system_sgpr_workgroup_info 0
		.amdhsa_system_vgpr_workitem_id 0
		.amdhsa_next_free_vgpr 4
		.amdhsa_next_free_sgpr 10
		.amdhsa_reserve_vcc 1
		.amdhsa_float_round_mode_32 0
		.amdhsa_float_round_mode_16_64 0
		.amdhsa_float_denorm_mode_32 3
		.amdhsa_float_denorm_mode_16_64 3
		.amdhsa_fp16_overflow 0
		.amdhsa_workgroup_processor_mode 1
		.amdhsa_memory_ordered 1
		.amdhsa_forward_progress 1
		.amdhsa_inst_pref_size 3
		.amdhsa_round_robin_scheduling 0
		.amdhsa_exception_fp_ieee_invalid_op 0
		.amdhsa_exception_fp_denorm_src 0
		.amdhsa_exception_fp_ieee_div_zero 0
		.amdhsa_exception_fp_ieee_overflow 0
		.amdhsa_exception_fp_ieee_underflow 0
		.amdhsa_exception_fp_ieee_inexact 0
		.amdhsa_exception_int_div_zero 0
	.end_amdhsa_kernel
	.text
.Lfunc_end0:
	.size	_Z19embed_kernel_scalarPK14__hip_bfloat16PKiPfii, .Lfunc_end0-_Z19embed_kernel_scalarPK14__hip_bfloat16PKiPfii
                                        ; -- End function
	.set _Z19embed_kernel_scalarPK14__hip_bfloat16PKiPfii.num_vgpr, 4
	.set _Z19embed_kernel_scalarPK14__hip_bfloat16PKiPfii.num_agpr, 0
	.set _Z19embed_kernel_scalarPK14__hip_bfloat16PKiPfii.numbered_sgpr, 10
	.set _Z19embed_kernel_scalarPK14__hip_bfloat16PKiPfii.num_named_barrier, 0
	.set _Z19embed_kernel_scalarPK14__hip_bfloat16PKiPfii.private_seg_size, 0
	.set _Z19embed_kernel_scalarPK14__hip_bfloat16PKiPfii.uses_vcc, 1
	.set _Z19embed_kernel_scalarPK14__hip_bfloat16PKiPfii.uses_flat_scratch, 0
	.set _Z19embed_kernel_scalarPK14__hip_bfloat16PKiPfii.has_dyn_sized_stack, 0
	.set _Z19embed_kernel_scalarPK14__hip_bfloat16PKiPfii.has_recursion, 0
	.set _Z19embed_kernel_scalarPK14__hip_bfloat16PKiPfii.has_indirect_call, 0
	.section	.AMDGPU.csdata,"",@progbits
; Kernel info:
; codeLenInByte = 328
; TotalNumSgprs: 12
; NumVgprs: 4
; ScratchSize: 0
; MemoryBound: 0
; FloatMode: 240
; IeeeMode: 1
; LDSByteSize: 4 bytes/workgroup (compile time only)
; SGPRBlocks: 0
; VGPRBlocks: 0
; NumSGPRsForWavesPerEU: 12
; NumVGPRsForWavesPerEU: 4
; Occupancy: 16
; WaveLimiterHint : 0
; COMPUTE_PGM_RSRC2:SCRATCH_EN: 0
; COMPUTE_PGM_RSRC2:USER_SGPR: 2
; COMPUTE_PGM_RSRC2:TRAP_HANDLER: 0
; COMPUTE_PGM_RSRC2:TGID_X_EN: 1
; COMPUTE_PGM_RSRC2:TGID_Y_EN: 1
; COMPUTE_PGM_RSRC2:TGID_Z_EN: 0
; COMPUTE_PGM_RSRC2:TIDIG_COMP_CNT: 0
	.section	.text._Z16embed_kernel_vecILi8EEvPK14__hip_bfloat16PKiPfii,"axG",@progbits,_Z16embed_kernel_vecILi8EEvPK14__hip_bfloat16PKiPfii,comdat
	.protected	_Z16embed_kernel_vecILi8EEvPK14__hip_bfloat16PKiPfii ; -- Begin function _Z16embed_kernel_vecILi8EEvPK14__hip_bfloat16PKiPfii
	.globl	_Z16embed_kernel_vecILi8EEvPK14__hip_bfloat16PKiPfii
	.p2align	8
	.type	_Z16embed_kernel_vecILi8EEvPK14__hip_bfloat16PKiPfii,@function
_Z16embed_kernel_vecILi8EEvPK14__hip_bfloat16PKiPfii: ; @_Z16embed_kernel_vecILi8EEvPK14__hip_bfloat16PKiPfii
; %bb.0:
	s_clause 0x1
	s_load_b32 s2, s[0:1], 0x2c
	s_load_b64 s[8:9], s[0:1], 0x18
	s_wait_kmcnt 0x0
	s_and_b32 s2, s2, 0xffff
	s_cmp_lt_i32 ttmp7, s8
	s_mul_i32 s2, ttmp9, s2
	s_delay_alu instid0(SALU_CYCLE_1) | instskip(SKIP_1) | instid1(VALU_DEP_1)
	v_add_lshl_u32 v0, s2, v0, 3
	s_cselect_b32 s2, -1, 0
	v_cmp_gt_i32_e32 vcc_lo, s9, v0
	s_wait_alu 0xfffe
	s_and_b32 s2, s2, vcc_lo
	s_wait_alu 0xfffe
	s_and_saveexec_b32 s3, s2
	s_cbranch_execz .LBB1_11
; %bb.1:
	s_clause 0x1
	s_load_b128 s[4:7], s[0:1], 0x0
	s_load_b64 s[2:3], s[0:1], 0x10
	s_mov_b32 s10, ttmp7
	s_ashr_i32 s11, ttmp7, 31
	v_sub_nc_u32_e32 v2, s9, v0
	s_lshl_b64 s[12:13], s[10:11], 2
	v_ashrrev_i32_e32 v1, 31, v0
	s_delay_alu instid0(VALU_DEP_2)
	v_min_i32_e32 v6, 8, v2
	s_wait_kmcnt 0x0
	s_add_nc_u64 s[0:1], s[6:7], s[12:13]
	s_ashr_i32 s13, s9, 31
	s_load_b32 s0, s[0:1], 0x0
	s_mov_b32 s12, s9
	s_delay_alu instid0(SALU_CYCLE_1) | instskip(SKIP_2) | instid1(SALU_CYCLE_1)
	s_mul_u64 s[6:7], s[12:13], s[10:11]
	s_wait_kmcnt 0x0
	s_ashr_i32 s1, s0, 31
	s_mul_u64 s[10:11], s[0:1], s[12:13]
	s_mov_b32 s1, exec_lo
	v_cmpx_lt_i32_e32 1, v2
	s_cbranch_execz .LBB1_9
; %bb.2:
	v_lshrrev_b32_e32 v3, 1, v6
	v_mov_b32_e32 v7, 0
	s_mov_b32 s8, exec_lo
	s_delay_alu instid0(VALU_DEP_2)
	v_max_u32_e32 v8, 1, v3
	v_cmpx_lt_i32_e32 7, v2
	s_cbranch_execz .LBB1_6
; %bb.3:
	v_lshlrev_b64_e32 v[2:3], 2, v[0:1]
	s_lshl_b64 s[12:13], s[6:7], 2
	v_lshlrev_b64_e32 v[4:5], 1, v[0:1]
	s_add_nc_u64 s[12:13], s[2:3], s[12:13]
	s_lshl_b64 s[14:15], s[10:11], 1
	v_and_b32_e32 v7, 4, v8
	v_add_co_u32 v2, vcc_lo, s12, v2
	s_delay_alu instid0(VALU_DEP_1)
	v_add_co_ci_u32_e64 v3, null, s13, v3, vcc_lo
	s_add_nc_u64 s[12:13], s[4:5], s[14:15]
	s_wait_alu 0xfffe
	v_add_co_u32 v4, vcc_lo, s12, v4
	s_wait_alu 0xfffd
	v_add_co_ci_u32_e64 v5, null, s13, v5, vcc_lo
	v_add_co_u32 v2, vcc_lo, v2, 28
	s_wait_alu 0xfffd
	v_add_co_ci_u32_e64 v3, null, 0, v3, vcc_lo
	;; [unrolled: 3-line block ×3, first 2 shown]
	s_mov_b32 s12, 0
	s_mov_b32 s13, 0
.LBB1_4:                                ; =>This Inner Loop Header: Depth=1
	global_load_b128 v[9:12], v[4:5], off offset:-8
	s_wait_alu 0xfffe
	s_add_co_i32 s13, s13, 4
	v_add_co_u32 v4, vcc_lo, v4, 16
	s_wait_alu 0xfffd
	v_add_co_ci_u32_e64 v5, null, 0, v5, vcc_lo
	s_wait_alu 0xfffe
	v_cmp_eq_u32_e32 vcc_lo, s13, v7
	s_or_b32 s12, vcc_lo, s12
	s_wait_loadcnt 0x0
	v_lshlrev_b32_e32 v13, 16, v9
	v_and_b32_e32 v14, 0xffff0000, v9
	v_lshlrev_b32_e32 v15, 16, v10
	v_and_b32_e32 v16, 0xffff0000, v10
	v_lshlrev_b32_e32 v9, 16, v11
	v_and_b32_e32 v10, 0xffff0000, v11
	v_lshlrev_b32_e32 v11, 16, v12
	v_and_b32_e32 v12, 0xffff0000, v12
	s_clause 0x1
	global_store_b128 v[2:3], v[13:16], off offset:-28
	global_store_b128 v[2:3], v[9:12], off offset:-12
	v_add_co_u32 v2, s0, v2, 32
	s_wait_alu 0xf1ff
	v_add_co_ci_u32_e64 v3, null, 0, v3, s0
	s_wait_alu 0xfffe
	s_and_not1_b32 exec_lo, exec_lo, s12
	s_cbranch_execnz .LBB1_4
; %bb.5:
	s_or_b32 exec_lo, exec_lo, s12
.LBB1_6:
	s_wait_alu 0xfffe
	s_or_b32 exec_lo, exec_lo, s8
	v_and_b32_e32 v8, 3, v8
	s_mov_b32 s8, 0
	s_delay_alu instid0(VALU_DEP_1)
	v_cmp_ne_u32_e32 vcc_lo, 0, v8
	s_and_b32 exec_lo, exec_lo, vcc_lo
	s_cbranch_execz .LBB1_9
; %bb.7:
	v_lshlrev_b32_e32 v2, 3, v7
	s_lshl_b64 s[12:13], s[6:7], 2
	v_lshlrev_b32_e32 v4, 2, v7
	s_wait_alu 0xfffe
	s_delay_alu instid0(VALU_DEP_2)
	v_add_co_u32 v7, s0, s12, v2
	s_wait_alu 0xf1ff
	v_add_co_ci_u32_e64 v9, null, s13, 0, s0
	v_lshlrev_b64_e32 v[2:3], 2, v[0:1]
	s_lshl_b64 s[12:13], s[10:11], 1
	s_wait_alu 0xfffe
	v_add_co_u32 v10, s0, s12, v4
	v_lshlrev_b64_e32 v[4:5], 1, v[0:1]
	s_wait_alu 0xf1ff
	v_add_co_ci_u32_e64 v11, null, s13, 0, s0
	v_add_co_u32 v2, vcc_lo, v7, v2
	s_wait_alu 0xfffd
	v_add_co_ci_u32_e64 v3, null, v9, v3, vcc_lo
	v_add_co_u32 v4, vcc_lo, v10, v4
	s_wait_alu 0xfffd
	v_add_co_ci_u32_e64 v5, null, v11, v5, vcc_lo
	;; [unrolled: 3-line block ×6, first 2 shown]
.LBB1_8:                                ; =>This Inner Loop Header: Depth=1
	global_load_b32 v7, v[4:5], off offset:-2
	v_add_nc_u32_e32 v8, -1, v8
	v_add_co_u32 v4, vcc_lo, v4, 4
	s_wait_alu 0xfffd
	v_add_co_ci_u32_e64 v5, null, 0, v5, vcc_lo
	s_delay_alu instid0(VALU_DEP_3)
	v_cmp_eq_u32_e32 vcc_lo, 0, v8
	s_or_b32 s8, vcc_lo, s8
	s_wait_loadcnt 0x0
	v_lshlrev_b32_e32 v9, 16, v7
	v_and_b32_e32 v10, 0xffff0000, v7
	global_store_b64 v[2:3], v[9:10], off offset:-4
	v_add_co_u32 v2, s0, v2, 8
	s_wait_alu 0xf1ff
	v_add_co_ci_u32_e64 v3, null, 0, v3, s0
	s_wait_alu 0xfffe
	s_and_not1_b32 exec_lo, exec_lo, s8
	s_cbranch_execnz .LBB1_8
.LBB1_9:
	s_or_b32 exec_lo, exec_lo, s1
	v_and_b32_e32 v2, -2, v6
	s_delay_alu instid0(VALU_DEP_1) | instskip(SKIP_1) | instid1(VALU_DEP_2)
	v_add_nc_u32_e32 v3, v2, v0
	v_cmp_gt_i32_e32 vcc_lo, 8, v2
	v_cmp_gt_i32_e64 s0, s9, v3
	s_and_b32 s0, vcc_lo, s0
	s_wait_alu 0xfffe
	s_and_b32 exec_lo, exec_lo, s0
	s_cbranch_execz .LBB1_11
; %bb.10:
	v_ashrrev_i32_e32 v3, 31, v2
	v_lshlrev_b64_e32 v[4:5], 1, v[0:1]
	s_lshl_b64 s[0:1], s[10:11], 1
	v_lshlrev_b64_e32 v[0:1], 2, v[0:1]
	s_wait_alu 0xfffe
	s_add_nc_u64 s[0:1], s[4:5], s[0:1]
	v_lshlrev_b64_e32 v[6:7], 1, v[2:3]
	v_lshlrev_b64_e32 v[2:3], 2, v[2:3]
	s_wait_alu 0xfffe
	v_add_co_u32 v4, vcc_lo, s0, v4
	s_wait_alu 0xfffd
	v_add_co_ci_u32_e64 v5, null, s1, v5, vcc_lo
	s_lshl_b64 s[0:1], s[6:7], 2
	v_add_co_u32 v4, vcc_lo, v4, v6
	s_wait_alu 0xfffd
	v_add_co_ci_u32_e64 v5, null, v5, v7, vcc_lo
	s_wait_alu 0xfffe
	s_add_nc_u64 s[0:1], s[2:3], s[0:1]
	s_wait_alu 0xfffe
	v_add_co_u32 v0, vcc_lo, s0, v0
	global_load_u16 v4, v[4:5], off
	s_wait_alu 0xfffd
	v_add_co_ci_u32_e64 v1, null, s1, v1, vcc_lo
	v_add_co_u32 v0, vcc_lo, v0, v2
	s_wait_alu 0xfffd
	s_delay_alu instid0(VALU_DEP_2)
	v_add_co_ci_u32_e64 v1, null, v1, v3, vcc_lo
	s_wait_loadcnt 0x0
	v_lshlrev_b32_e32 v2, 16, v4
	global_store_b32 v[0:1], v2, off
.LBB1_11:
	s_endpgm
	.section	.rodata,"a",@progbits
	.p2align	6, 0x0
	.amdhsa_kernel _Z16embed_kernel_vecILi8EEvPK14__hip_bfloat16PKiPfii
		.amdhsa_group_segment_fixed_size 0
		.amdhsa_private_segment_fixed_size 0
		.amdhsa_kernarg_size 288
		.amdhsa_user_sgpr_count 2
		.amdhsa_user_sgpr_dispatch_ptr 0
		.amdhsa_user_sgpr_queue_ptr 0
		.amdhsa_user_sgpr_kernarg_segment_ptr 1
		.amdhsa_user_sgpr_dispatch_id 0
		.amdhsa_user_sgpr_private_segment_size 0
		.amdhsa_wavefront_size32 1
		.amdhsa_uses_dynamic_stack 0
		.amdhsa_enable_private_segment 0
		.amdhsa_system_sgpr_workgroup_id_x 1
		.amdhsa_system_sgpr_workgroup_id_y 1
		.amdhsa_system_sgpr_workgroup_id_z 0
		.amdhsa_system_sgpr_workgroup_info 0
		.amdhsa_system_vgpr_workitem_id 0
		.amdhsa_next_free_vgpr 17
		.amdhsa_next_free_sgpr 16
		.amdhsa_reserve_vcc 1
		.amdhsa_float_round_mode_32 0
		.amdhsa_float_round_mode_16_64 0
		.amdhsa_float_denorm_mode_32 3
		.amdhsa_float_denorm_mode_16_64 3
		.amdhsa_fp16_overflow 0
		.amdhsa_workgroup_processor_mode 1
		.amdhsa_memory_ordered 1
		.amdhsa_forward_progress 1
		.amdhsa_inst_pref_size 9
		.amdhsa_round_robin_scheduling 0
		.amdhsa_exception_fp_ieee_invalid_op 0
		.amdhsa_exception_fp_denorm_src 0
		.amdhsa_exception_fp_ieee_div_zero 0
		.amdhsa_exception_fp_ieee_overflow 0
		.amdhsa_exception_fp_ieee_underflow 0
		.amdhsa_exception_fp_ieee_inexact 0
		.amdhsa_exception_int_div_zero 0
	.end_amdhsa_kernel
	.section	.text._Z16embed_kernel_vecILi8EEvPK14__hip_bfloat16PKiPfii,"axG",@progbits,_Z16embed_kernel_vecILi8EEvPK14__hip_bfloat16PKiPfii,comdat
.Lfunc_end1:
	.size	_Z16embed_kernel_vecILi8EEvPK14__hip_bfloat16PKiPfii, .Lfunc_end1-_Z16embed_kernel_vecILi8EEvPK14__hip_bfloat16PKiPfii
                                        ; -- End function
	.set _Z16embed_kernel_vecILi8EEvPK14__hip_bfloat16PKiPfii.num_vgpr, 17
	.set _Z16embed_kernel_vecILi8EEvPK14__hip_bfloat16PKiPfii.num_agpr, 0
	.set _Z16embed_kernel_vecILi8EEvPK14__hip_bfloat16PKiPfii.numbered_sgpr, 16
	.set _Z16embed_kernel_vecILi8EEvPK14__hip_bfloat16PKiPfii.num_named_barrier, 0
	.set _Z16embed_kernel_vecILi8EEvPK14__hip_bfloat16PKiPfii.private_seg_size, 0
	.set _Z16embed_kernel_vecILi8EEvPK14__hip_bfloat16PKiPfii.uses_vcc, 1
	.set _Z16embed_kernel_vecILi8EEvPK14__hip_bfloat16PKiPfii.uses_flat_scratch, 0
	.set _Z16embed_kernel_vecILi8EEvPK14__hip_bfloat16PKiPfii.has_dyn_sized_stack, 0
	.set _Z16embed_kernel_vecILi8EEvPK14__hip_bfloat16PKiPfii.has_recursion, 0
	.set _Z16embed_kernel_vecILi8EEvPK14__hip_bfloat16PKiPfii.has_indirect_call, 0
	.section	.AMDGPU.csdata,"",@progbits
; Kernel info:
; codeLenInByte = 1052
; TotalNumSgprs: 18
; NumVgprs: 17
; ScratchSize: 0
; MemoryBound: 0
; FloatMode: 240
; IeeeMode: 1
; LDSByteSize: 0 bytes/workgroup (compile time only)
; SGPRBlocks: 0
; VGPRBlocks: 2
; NumSGPRsForWavesPerEU: 18
; NumVGPRsForWavesPerEU: 17
; Occupancy: 16
; WaveLimiterHint : 1
; COMPUTE_PGM_RSRC2:SCRATCH_EN: 0
; COMPUTE_PGM_RSRC2:USER_SGPR: 2
; COMPUTE_PGM_RSRC2:TRAP_HANDLER: 0
; COMPUTE_PGM_RSRC2:TGID_X_EN: 1
; COMPUTE_PGM_RSRC2:TGID_Y_EN: 1
; COMPUTE_PGM_RSRC2:TGID_Z_EN: 0
; COMPUTE_PGM_RSRC2:TIDIG_COMP_CNT: 0
	.section	.text._Z16embed_kernel_vecILi2EEvPK14__hip_bfloat16PKiPfii,"axG",@progbits,_Z16embed_kernel_vecILi2EEvPK14__hip_bfloat16PKiPfii,comdat
	.protected	_Z16embed_kernel_vecILi2EEvPK14__hip_bfloat16PKiPfii ; -- Begin function _Z16embed_kernel_vecILi2EEvPK14__hip_bfloat16PKiPfii
	.globl	_Z16embed_kernel_vecILi2EEvPK14__hip_bfloat16PKiPfii
	.p2align	8
	.type	_Z16embed_kernel_vecILi2EEvPK14__hip_bfloat16PKiPfii,@function
_Z16embed_kernel_vecILi2EEvPK14__hip_bfloat16PKiPfii: ; @_Z16embed_kernel_vecILi2EEvPK14__hip_bfloat16PKiPfii
; %bb.0:
	s_clause 0x1
	s_load_b32 s4, s[0:1], 0x2c
	s_load_b64 s[2:3], s[0:1], 0x18
	s_wait_kmcnt 0x0
	s_and_b32 s4, s4, 0xffff
	s_cmp_lt_i32 ttmp7, s2
	s_mul_i32 s4, ttmp9, s4
	s_cselect_b32 s2, -1, 0
	v_add_lshl_u32 v0, s4, v0, 1
	s_delay_alu instid0(VALU_DEP_1)
	v_cmp_gt_i32_e32 vcc_lo, s3, v0
	s_and_b32 s2, s2, vcc_lo
	s_wait_alu 0xfffe
	s_and_saveexec_b32 s4, s2
	s_cbranch_execz .LBB2_5
; %bb.1:
	s_load_b128 s[4:7], s[0:1], 0x0
	s_mov_b32 s8, ttmp7
	s_ashr_i32 s9, ttmp7, 31
	s_load_b64 s[0:1], s[0:1], 0x10
	s_lshl_b64 s[10:11], s[8:9], 2
	v_ashrrev_i32_e32 v1, 31, v0
	v_sub_nc_u32_e32 v5, s3, v0
	s_delay_alu instid0(VALU_DEP_2) | instskip(SKIP_1) | instid1(VALU_DEP_3)
	v_lshlrev_b64_e32 v[3:4], 1, v[0:1]
	v_lshlrev_b64_e32 v[1:2], 2, v[0:1]
	v_cmp_gt_i32_e32 vcc_lo, 2, v5
	s_wait_kmcnt 0x0
	s_add_nc_u64 s[6:7], s[6:7], s[10:11]
	s_ashr_i32 s11, s3, 31
	s_load_b32 s6, s[6:7], 0x0
	s_mov_b32 s10, s3
	s_delay_alu instid0(SALU_CYCLE_1) | instskip(NEXT) | instid1(SALU_CYCLE_1)
	s_mul_u64 s[8:9], s[10:11], s[8:9]
	s_lshl_b64 s[8:9], s[8:9], 2
	s_delay_alu instid0(SALU_CYCLE_1) | instskip(NEXT) | instid1(SALU_CYCLE_1)
	s_add_nc_u64 s[0:1], s[0:1], s[8:9]
	v_add_co_u32 v1, s0, s0, v1
	s_wait_alu 0xf1ff
	v_add_co_ci_u32_e64 v2, null, s1, v2, s0
	s_wait_kmcnt 0x0
	s_ashr_i32 s7, s6, 31
	s_delay_alu instid0(SALU_CYCLE_1) | instskip(NEXT) | instid1(SALU_CYCLE_1)
	s_mul_u64 s[6:7], s[6:7], s[10:11]
	s_lshl_b64 s[6:7], s[6:7], 1
	s_delay_alu instid0(SALU_CYCLE_1)
	s_add_nc_u64 s[0:1], s[4:5], s[6:7]
	s_wait_alu 0xfffe
	v_add_co_u32 v3, s0, s0, v3
	s_wait_alu 0xf1ff
	v_add_co_ci_u32_e64 v4, null, s1, v4, s0
	s_mov_b32 s1, exec_lo
	v_cmpx_lt_i32_e32 1, v5
	s_cbranch_execz .LBB2_3
; %bb.2:
	global_load_b32 v7, v[3:4], off
	s_wait_loadcnt 0x0
	v_lshlrev_b32_e32 v6, 16, v7
	v_and_b32_e32 v7, 0xffff0000, v7
	global_store_b64 v[1:2], v[6:7], off
.LBB2_3:
	s_wait_alu 0xfffe
	s_or_b32 exec_lo, exec_lo, s1
	v_min_i32_e32 v5, 2, v5
	s_delay_alu instid0(VALU_DEP_1) | instskip(NEXT) | instid1(VALU_DEP_1)
	v_and_b32_e32 v5, -2, v5
	v_add_nc_u32_e32 v0, v5, v0
	s_delay_alu instid0(VALU_DEP_1)
	v_cmp_gt_i32_e64 s0, s3, v0
	s_and_b32 s0, vcc_lo, s0
	s_wait_alu 0xfffe
	s_and_b32 exec_lo, exec_lo, s0
	s_cbranch_execz .LBB2_5
; %bb.4:
	v_ashrrev_i32_e32 v6, 31, v5
	s_delay_alu instid0(VALU_DEP_1) | instskip(NEXT) | instid1(VALU_DEP_1)
	v_lshlrev_b64_e32 v[7:8], 1, v[5:6]
	v_add_co_u32 v3, vcc_lo, v3, v7
	s_delay_alu instid0(VALU_DEP_1) | instskip(SKIP_2) | instid1(VALU_DEP_1)
	v_add_co_ci_u32_e64 v4, null, v4, v8, vcc_lo
	global_load_u16 v7, v[3:4], off
	v_lshlrev_b64_e32 v[3:4], 2, v[5:6]
	v_add_co_u32 v0, vcc_lo, v1, v3
	s_wait_alu 0xfffd
	s_delay_alu instid0(VALU_DEP_2)
	v_add_co_ci_u32_e64 v1, null, v2, v4, vcc_lo
	s_wait_loadcnt 0x0
	v_lshlrev_b32_e32 v2, 16, v7
	global_store_b32 v[0:1], v2, off
.LBB2_5:
	s_endpgm
	.section	.rodata,"a",@progbits
	.p2align	6, 0x0
	.amdhsa_kernel _Z16embed_kernel_vecILi2EEvPK14__hip_bfloat16PKiPfii
		.amdhsa_group_segment_fixed_size 0
		.amdhsa_private_segment_fixed_size 0
		.amdhsa_kernarg_size 288
		.amdhsa_user_sgpr_count 2
		.amdhsa_user_sgpr_dispatch_ptr 0
		.amdhsa_user_sgpr_queue_ptr 0
		.amdhsa_user_sgpr_kernarg_segment_ptr 1
		.amdhsa_user_sgpr_dispatch_id 0
		.amdhsa_user_sgpr_private_segment_size 0
		.amdhsa_wavefront_size32 1
		.amdhsa_uses_dynamic_stack 0
		.amdhsa_enable_private_segment 0
		.amdhsa_system_sgpr_workgroup_id_x 1
		.amdhsa_system_sgpr_workgroup_id_y 1
		.amdhsa_system_sgpr_workgroup_id_z 0
		.amdhsa_system_sgpr_workgroup_info 0
		.amdhsa_system_vgpr_workitem_id 0
		.amdhsa_next_free_vgpr 9
		.amdhsa_next_free_sgpr 12
		.amdhsa_reserve_vcc 1
		.amdhsa_float_round_mode_32 0
		.amdhsa_float_round_mode_16_64 0
		.amdhsa_float_denorm_mode_32 3
		.amdhsa_float_denorm_mode_16_64 3
		.amdhsa_fp16_overflow 0
		.amdhsa_workgroup_processor_mode 1
		.amdhsa_memory_ordered 1
		.amdhsa_forward_progress 1
		.amdhsa_inst_pref_size 4
		.amdhsa_round_robin_scheduling 0
		.amdhsa_exception_fp_ieee_invalid_op 0
		.amdhsa_exception_fp_denorm_src 0
		.amdhsa_exception_fp_ieee_div_zero 0
		.amdhsa_exception_fp_ieee_overflow 0
		.amdhsa_exception_fp_ieee_underflow 0
		.amdhsa_exception_fp_ieee_inexact 0
		.amdhsa_exception_int_div_zero 0
	.end_amdhsa_kernel
	.section	.text._Z16embed_kernel_vecILi2EEvPK14__hip_bfloat16PKiPfii,"axG",@progbits,_Z16embed_kernel_vecILi2EEvPK14__hip_bfloat16PKiPfii,comdat
.Lfunc_end2:
	.size	_Z16embed_kernel_vecILi2EEvPK14__hip_bfloat16PKiPfii, .Lfunc_end2-_Z16embed_kernel_vecILi2EEvPK14__hip_bfloat16PKiPfii
                                        ; -- End function
	.set _Z16embed_kernel_vecILi2EEvPK14__hip_bfloat16PKiPfii.num_vgpr, 9
	.set _Z16embed_kernel_vecILi2EEvPK14__hip_bfloat16PKiPfii.num_agpr, 0
	.set _Z16embed_kernel_vecILi2EEvPK14__hip_bfloat16PKiPfii.numbered_sgpr, 12
	.set _Z16embed_kernel_vecILi2EEvPK14__hip_bfloat16PKiPfii.num_named_barrier, 0
	.set _Z16embed_kernel_vecILi2EEvPK14__hip_bfloat16PKiPfii.private_seg_size, 0
	.set _Z16embed_kernel_vecILi2EEvPK14__hip_bfloat16PKiPfii.uses_vcc, 1
	.set _Z16embed_kernel_vecILi2EEvPK14__hip_bfloat16PKiPfii.uses_flat_scratch, 0
	.set _Z16embed_kernel_vecILi2EEvPK14__hip_bfloat16PKiPfii.has_dyn_sized_stack, 0
	.set _Z16embed_kernel_vecILi2EEvPK14__hip_bfloat16PKiPfii.has_recursion, 0
	.set _Z16embed_kernel_vecILi2EEvPK14__hip_bfloat16PKiPfii.has_indirect_call, 0
	.section	.AMDGPU.csdata,"",@progbits
; Kernel info:
; codeLenInByte = 444
; TotalNumSgprs: 14
; NumVgprs: 9
; ScratchSize: 0
; MemoryBound: 0
; FloatMode: 240
; IeeeMode: 1
; LDSByteSize: 0 bytes/workgroup (compile time only)
; SGPRBlocks: 0
; VGPRBlocks: 1
; NumSGPRsForWavesPerEU: 14
; NumVGPRsForWavesPerEU: 9
; Occupancy: 16
; WaveLimiterHint : 1
; COMPUTE_PGM_RSRC2:SCRATCH_EN: 0
; COMPUTE_PGM_RSRC2:USER_SGPR: 2
; COMPUTE_PGM_RSRC2:TRAP_HANDLER: 0
; COMPUTE_PGM_RSRC2:TGID_X_EN: 1
; COMPUTE_PGM_RSRC2:TGID_Y_EN: 1
; COMPUTE_PGM_RSRC2:TGID_Z_EN: 0
; COMPUTE_PGM_RSRC2:TIDIG_COMP_CNT: 0
	.text
	.p2alignl 7, 3214868480
	.fill 96, 4, 3214868480
	.section	.AMDGPU.gpr_maximums,"",@progbits
	.set amdgpu.max_num_vgpr, 0
	.set amdgpu.max_num_agpr, 0
	.set amdgpu.max_num_sgpr, 0
	.text
	.type	__hip_cuid_c54c3f69b08171be,@object ; @__hip_cuid_c54c3f69b08171be
	.section	.bss,"aw",@nobits
	.globl	__hip_cuid_c54c3f69b08171be
__hip_cuid_c54c3f69b08171be:
	.byte	0                               ; 0x0
	.size	__hip_cuid_c54c3f69b08171be, 1

	.ident	"AMD clang version 22.0.0git (https://github.com/RadeonOpenCompute/llvm-project roc-7.2.4 26084 f58b06dce1f9c15707c5f808fd002e18c2accf7e)"
	.section	".note.GNU-stack","",@progbits
	.addrsig
	.addrsig_sym __hip_cuid_c54c3f69b08171be
	.amdgpu_metadata
---
amdhsa.kernels:
  - .args:
      - .actual_access:  read_only
        .address_space:  global
        .offset:         0
        .size:           8
        .value_kind:     global_buffer
      - .actual_access:  read_only
        .address_space:  global
        .offset:         8
        .size:           8
        .value_kind:     global_buffer
      - .actual_access:  write_only
        .address_space:  global
        .offset:         16
        .size:           8
        .value_kind:     global_buffer
      - .offset:         24
        .size:           4
        .value_kind:     by_value
      - .offset:         28
        .size:           4
        .value_kind:     by_value
      - .offset:         32
        .size:           4
        .value_kind:     hidden_block_count_x
      - .offset:         36
        .size:           4
        .value_kind:     hidden_block_count_y
      - .offset:         40
        .size:           4
        .value_kind:     hidden_block_count_z
      - .offset:         44
        .size:           2
        .value_kind:     hidden_group_size_x
      - .offset:         46
        .size:           2
        .value_kind:     hidden_group_size_y
      - .offset:         48
        .size:           2
        .value_kind:     hidden_group_size_z
      - .offset:         50
        .size:           2
        .value_kind:     hidden_remainder_x
      - .offset:         52
        .size:           2
        .value_kind:     hidden_remainder_y
      - .offset:         54
        .size:           2
        .value_kind:     hidden_remainder_z
      - .offset:         72
        .size:           8
        .value_kind:     hidden_global_offset_x
      - .offset:         80
        .size:           8
        .value_kind:     hidden_global_offset_y
      - .offset:         88
        .size:           8
        .value_kind:     hidden_global_offset_z
      - .offset:         96
        .size:           2
        .value_kind:     hidden_grid_dims
    .group_segment_fixed_size: 4
    .kernarg_segment_align: 8
    .kernarg_segment_size: 288
    .language:       OpenCL C
    .language_version:
      - 2
      - 0
    .max_flat_workgroup_size: 256
    .name:           _Z19embed_kernel_scalarPK14__hip_bfloat16PKiPfii
    .private_segment_fixed_size: 0
    .sgpr_count:     12
    .sgpr_spill_count: 0
    .symbol:         _Z19embed_kernel_scalarPK14__hip_bfloat16PKiPfii.kd
    .uniform_work_group_size: 1
    .uses_dynamic_stack: false
    .vgpr_count:     4
    .vgpr_spill_count: 0
    .wavefront_size: 32
    .workgroup_processor_mode: 1
  - .args:
      - .actual_access:  read_only
        .address_space:  global
        .offset:         0
        .size:           8
        .value_kind:     global_buffer
      - .actual_access:  read_only
        .address_space:  global
        .offset:         8
        .size:           8
        .value_kind:     global_buffer
      - .actual_access:  write_only
        .address_space:  global
        .offset:         16
        .size:           8
        .value_kind:     global_buffer
      - .offset:         24
        .size:           4
        .value_kind:     by_value
      - .offset:         28
        .size:           4
        .value_kind:     by_value
      - .offset:         32
        .size:           4
        .value_kind:     hidden_block_count_x
      - .offset:         36
        .size:           4
        .value_kind:     hidden_block_count_y
      - .offset:         40
        .size:           4
        .value_kind:     hidden_block_count_z
      - .offset:         44
        .size:           2
        .value_kind:     hidden_group_size_x
      - .offset:         46
        .size:           2
        .value_kind:     hidden_group_size_y
      - .offset:         48
        .size:           2
        .value_kind:     hidden_group_size_z
      - .offset:         50
        .size:           2
        .value_kind:     hidden_remainder_x
      - .offset:         52
        .size:           2
        .value_kind:     hidden_remainder_y
      - .offset:         54
        .size:           2
        .value_kind:     hidden_remainder_z
      - .offset:         72
        .size:           8
        .value_kind:     hidden_global_offset_x
      - .offset:         80
        .size:           8
        .value_kind:     hidden_global_offset_y
      - .offset:         88
        .size:           8
        .value_kind:     hidden_global_offset_z
      - .offset:         96
        .size:           2
        .value_kind:     hidden_grid_dims
    .group_segment_fixed_size: 0
    .kernarg_segment_align: 8
    .kernarg_segment_size: 288
    .language:       OpenCL C
    .language_version:
      - 2
      - 0
    .max_flat_workgroup_size: 256
    .name:           _Z16embed_kernel_vecILi8EEvPK14__hip_bfloat16PKiPfii
    .private_segment_fixed_size: 0
    .sgpr_count:     18
    .sgpr_spill_count: 0
    .symbol:         _Z16embed_kernel_vecILi8EEvPK14__hip_bfloat16PKiPfii.kd
    .uniform_work_group_size: 1
    .uses_dynamic_stack: false
    .vgpr_count:     17
    .vgpr_spill_count: 0
    .wavefront_size: 32
    .workgroup_processor_mode: 1
  - .args:
      - .actual_access:  read_only
        .address_space:  global
        .offset:         0
        .size:           8
        .value_kind:     global_buffer
      - .actual_access:  read_only
        .address_space:  global
        .offset:         8
        .size:           8
        .value_kind:     global_buffer
      - .actual_access:  write_only
        .address_space:  global
        .offset:         16
        .size:           8
        .value_kind:     global_buffer
      - .offset:         24
        .size:           4
        .value_kind:     by_value
      - .offset:         28
        .size:           4
        .value_kind:     by_value
      - .offset:         32
        .size:           4
        .value_kind:     hidden_block_count_x
      - .offset:         36
        .size:           4
        .value_kind:     hidden_block_count_y
      - .offset:         40
        .size:           4
        .value_kind:     hidden_block_count_z
      - .offset:         44
        .size:           2
        .value_kind:     hidden_group_size_x
      - .offset:         46
        .size:           2
        .value_kind:     hidden_group_size_y
      - .offset:         48
        .size:           2
        .value_kind:     hidden_group_size_z
      - .offset:         50
        .size:           2
        .value_kind:     hidden_remainder_x
      - .offset:         52
        .size:           2
        .value_kind:     hidden_remainder_y
      - .offset:         54
        .size:           2
        .value_kind:     hidden_remainder_z
      - .offset:         72
        .size:           8
        .value_kind:     hidden_global_offset_x
      - .offset:         80
        .size:           8
        .value_kind:     hidden_global_offset_y
      - .offset:         88
        .size:           8
        .value_kind:     hidden_global_offset_z
      - .offset:         96
        .size:           2
        .value_kind:     hidden_grid_dims
    .group_segment_fixed_size: 0
    .kernarg_segment_align: 8
    .kernarg_segment_size: 288
    .language:       OpenCL C
    .language_version:
      - 2
      - 0
    .max_flat_workgroup_size: 256
    .name:           _Z16embed_kernel_vecILi2EEvPK14__hip_bfloat16PKiPfii
    .private_segment_fixed_size: 0
    .sgpr_count:     14
    .sgpr_spill_count: 0
    .symbol:         _Z16embed_kernel_vecILi2EEvPK14__hip_bfloat16PKiPfii.kd
    .uniform_work_group_size: 1
    .uses_dynamic_stack: false
    .vgpr_count:     9
    .vgpr_spill_count: 0
    .wavefront_size: 32
    .workgroup_processor_mode: 1
amdhsa.target:   amdgcn-amd-amdhsa--gfx1201
amdhsa.version:
  - 1
  - 2
...

	.end_amdgpu_metadata
